;; amdgpu-corpus repo=ROCm/rocFFT kind=compiled arch=gfx1030 opt=O3
	.text
	.amdgcn_target "amdgcn-amd-amdhsa--gfx1030"
	.amdhsa_code_object_version 6
	.protected	fft_rtc_fwd_len1456_factors_13_4_7_2_2_wgs_182_tpt_182_halfLds_sp_ip_CI_unitstride_sbrr_C2R_dirReg ; -- Begin function fft_rtc_fwd_len1456_factors_13_4_7_2_2_wgs_182_tpt_182_halfLds_sp_ip_CI_unitstride_sbrr_C2R_dirReg
	.globl	fft_rtc_fwd_len1456_factors_13_4_7_2_2_wgs_182_tpt_182_halfLds_sp_ip_CI_unitstride_sbrr_C2R_dirReg
	.p2align	8
	.type	fft_rtc_fwd_len1456_factors_13_4_7_2_2_wgs_182_tpt_182_halfLds_sp_ip_CI_unitstride_sbrr_C2R_dirReg,@function
fft_rtc_fwd_len1456_factors_13_4_7_2_2_wgs_182_tpt_182_halfLds_sp_ip_CI_unitstride_sbrr_C2R_dirReg: ; @fft_rtc_fwd_len1456_factors_13_4_7_2_2_wgs_182_tpt_182_halfLds_sp_ip_CI_unitstride_sbrr_C2R_dirReg
; %bb.0:
	s_clause 0x2
	s_load_dwordx4 s[8:11], s[4:5], 0x0
	s_load_dwordx2 s[2:3], s[4:5], 0x50
	s_load_dwordx2 s[12:13], s[4:5], 0x18
	v_mul_u32_u24_e32 v1, 0x169, v0
	v_mov_b32_e32 v3, 0
	v_add_nc_u32_sdwa v5, s6, v1 dst_sel:DWORD dst_unused:UNUSED_PAD src0_sel:DWORD src1_sel:WORD_1
	v_mov_b32_e32 v1, 0
	v_mov_b32_e32 v6, v3
	v_mov_b32_e32 v2, 0
	s_waitcnt lgkmcnt(0)
	v_cmp_lt_u64_e64 s0, s[10:11], 2
	s_and_b32 vcc_lo, exec_lo, s0
	s_cbranch_vccnz .LBB0_8
; %bb.1:
	s_load_dwordx2 s[0:1], s[4:5], 0x10
	v_mov_b32_e32 v1, 0
	s_add_u32 s6, s12, 8
	v_mov_b32_e32 v2, 0
	s_addc_u32 s7, s13, 0
	s_mov_b64 s[16:17], 1
	s_waitcnt lgkmcnt(0)
	s_add_u32 s14, s0, 8
	s_addc_u32 s15, s1, 0
.LBB0_2:                                ; =>This Inner Loop Header: Depth=1
	s_load_dwordx2 s[18:19], s[14:15], 0x0
                                        ; implicit-def: $vgpr7_vgpr8
	s_mov_b32 s0, exec_lo
	s_waitcnt lgkmcnt(0)
	v_or_b32_e32 v4, s19, v6
	v_cmpx_ne_u64_e32 0, v[3:4]
	s_xor_b32 s1, exec_lo, s0
	s_cbranch_execz .LBB0_4
; %bb.3:                                ;   in Loop: Header=BB0_2 Depth=1
	v_cvt_f32_u32_e32 v4, s18
	v_cvt_f32_u32_e32 v7, s19
	s_sub_u32 s0, 0, s18
	s_subb_u32 s20, 0, s19
	v_fmac_f32_e32 v4, 0x4f800000, v7
	v_rcp_f32_e32 v4, v4
	v_mul_f32_e32 v4, 0x5f7ffffc, v4
	v_mul_f32_e32 v7, 0x2f800000, v4
	v_trunc_f32_e32 v7, v7
	v_fmac_f32_e32 v4, 0xcf800000, v7
	v_cvt_u32_f32_e32 v7, v7
	v_cvt_u32_f32_e32 v4, v4
	v_mul_lo_u32 v8, s0, v7
	v_mul_hi_u32 v9, s0, v4
	v_mul_lo_u32 v10, s20, v4
	v_add_nc_u32_e32 v8, v9, v8
	v_mul_lo_u32 v9, s0, v4
	v_add_nc_u32_e32 v8, v8, v10
	v_mul_hi_u32 v10, v4, v9
	v_mul_lo_u32 v11, v4, v8
	v_mul_hi_u32 v12, v4, v8
	v_mul_hi_u32 v13, v7, v9
	v_mul_lo_u32 v9, v7, v9
	v_mul_hi_u32 v14, v7, v8
	v_mul_lo_u32 v8, v7, v8
	v_add_co_u32 v10, vcc_lo, v10, v11
	v_add_co_ci_u32_e32 v11, vcc_lo, 0, v12, vcc_lo
	v_add_co_u32 v9, vcc_lo, v10, v9
	v_add_co_ci_u32_e32 v9, vcc_lo, v11, v13, vcc_lo
	v_add_co_ci_u32_e32 v10, vcc_lo, 0, v14, vcc_lo
	v_add_co_u32 v8, vcc_lo, v9, v8
	v_add_co_ci_u32_e32 v9, vcc_lo, 0, v10, vcc_lo
	v_add_co_u32 v4, vcc_lo, v4, v8
	v_add_co_ci_u32_e32 v7, vcc_lo, v7, v9, vcc_lo
	v_mul_hi_u32 v8, s0, v4
	v_mul_lo_u32 v10, s20, v4
	v_mul_lo_u32 v9, s0, v7
	v_add_nc_u32_e32 v8, v8, v9
	v_mul_lo_u32 v9, s0, v4
	v_add_nc_u32_e32 v8, v8, v10
	v_mul_hi_u32 v10, v4, v9
	v_mul_lo_u32 v11, v4, v8
	v_mul_hi_u32 v12, v4, v8
	v_mul_hi_u32 v13, v7, v9
	v_mul_lo_u32 v9, v7, v9
	v_mul_hi_u32 v14, v7, v8
	v_mul_lo_u32 v8, v7, v8
	v_add_co_u32 v10, vcc_lo, v10, v11
	v_add_co_ci_u32_e32 v11, vcc_lo, 0, v12, vcc_lo
	v_add_co_u32 v9, vcc_lo, v10, v9
	v_add_co_ci_u32_e32 v9, vcc_lo, v11, v13, vcc_lo
	v_add_co_ci_u32_e32 v10, vcc_lo, 0, v14, vcc_lo
	v_add_co_u32 v8, vcc_lo, v9, v8
	v_add_co_ci_u32_e32 v9, vcc_lo, 0, v10, vcc_lo
	v_add_co_u32 v4, vcc_lo, v4, v8
	v_add_co_ci_u32_e32 v11, vcc_lo, v7, v9, vcc_lo
	v_mul_hi_u32 v13, v5, v4
	v_mad_u64_u32 v[9:10], null, v6, v4, 0
	v_mad_u64_u32 v[7:8], null, v5, v11, 0
	;; [unrolled: 1-line block ×3, first 2 shown]
	v_add_co_u32 v4, vcc_lo, v13, v7
	v_add_co_ci_u32_e32 v7, vcc_lo, 0, v8, vcc_lo
	v_add_co_u32 v4, vcc_lo, v4, v9
	v_add_co_ci_u32_e32 v4, vcc_lo, v7, v10, vcc_lo
	v_add_co_ci_u32_e32 v7, vcc_lo, 0, v12, vcc_lo
	v_add_co_u32 v4, vcc_lo, v4, v11
	v_add_co_ci_u32_e32 v9, vcc_lo, 0, v7, vcc_lo
	v_mul_lo_u32 v10, s19, v4
	v_mad_u64_u32 v[7:8], null, s18, v4, 0
	v_mul_lo_u32 v11, s18, v9
	v_sub_co_u32 v7, vcc_lo, v5, v7
	v_add3_u32 v8, v8, v11, v10
	v_sub_nc_u32_e32 v10, v6, v8
	v_subrev_co_ci_u32_e64 v10, s0, s19, v10, vcc_lo
	v_add_co_u32 v11, s0, v4, 2
	v_add_co_ci_u32_e64 v12, s0, 0, v9, s0
	v_sub_co_u32 v13, s0, v7, s18
	v_sub_co_ci_u32_e32 v8, vcc_lo, v6, v8, vcc_lo
	v_subrev_co_ci_u32_e64 v10, s0, 0, v10, s0
	v_cmp_le_u32_e32 vcc_lo, s18, v13
	v_cmp_eq_u32_e64 s0, s19, v8
	v_cndmask_b32_e64 v13, 0, -1, vcc_lo
	v_cmp_le_u32_e32 vcc_lo, s19, v10
	v_cndmask_b32_e64 v14, 0, -1, vcc_lo
	v_cmp_le_u32_e32 vcc_lo, s18, v7
	;; [unrolled: 2-line block ×3, first 2 shown]
	v_cndmask_b32_e64 v15, 0, -1, vcc_lo
	v_cmp_eq_u32_e32 vcc_lo, s19, v10
	v_cndmask_b32_e64 v7, v15, v7, s0
	v_cndmask_b32_e32 v10, v14, v13, vcc_lo
	v_add_co_u32 v13, vcc_lo, v4, 1
	v_add_co_ci_u32_e32 v14, vcc_lo, 0, v9, vcc_lo
	v_cmp_ne_u32_e32 vcc_lo, 0, v10
	v_cndmask_b32_e32 v8, v14, v12, vcc_lo
	v_cndmask_b32_e32 v10, v13, v11, vcc_lo
	v_cmp_ne_u32_e32 vcc_lo, 0, v7
	v_cndmask_b32_e32 v8, v9, v8, vcc_lo
	v_cndmask_b32_e32 v7, v4, v10, vcc_lo
.LBB0_4:                                ;   in Loop: Header=BB0_2 Depth=1
	s_andn2_saveexec_b32 s0, s1
	s_cbranch_execz .LBB0_6
; %bb.5:                                ;   in Loop: Header=BB0_2 Depth=1
	v_cvt_f32_u32_e32 v4, s18
	s_sub_i32 s1, 0, s18
	v_rcp_iflag_f32_e32 v4, v4
	v_mul_f32_e32 v4, 0x4f7ffffe, v4
	v_cvt_u32_f32_e32 v4, v4
	v_mul_lo_u32 v7, s1, v4
	v_mul_hi_u32 v7, v4, v7
	v_add_nc_u32_e32 v4, v4, v7
	v_mul_hi_u32 v4, v5, v4
	v_mul_lo_u32 v7, v4, s18
	v_add_nc_u32_e32 v8, 1, v4
	v_sub_nc_u32_e32 v7, v5, v7
	v_subrev_nc_u32_e32 v9, s18, v7
	v_cmp_le_u32_e32 vcc_lo, s18, v7
	v_cndmask_b32_e32 v7, v7, v9, vcc_lo
	v_cndmask_b32_e32 v4, v4, v8, vcc_lo
	v_cmp_le_u32_e32 vcc_lo, s18, v7
	v_add_nc_u32_e32 v8, 1, v4
	v_cndmask_b32_e32 v7, v4, v8, vcc_lo
	v_mov_b32_e32 v8, v3
.LBB0_6:                                ;   in Loop: Header=BB0_2 Depth=1
	s_or_b32 exec_lo, exec_lo, s0
	s_load_dwordx2 s[0:1], s[6:7], 0x0
	v_mul_lo_u32 v4, v8, s18
	v_mul_lo_u32 v11, v7, s19
	v_mad_u64_u32 v[9:10], null, v7, s18, 0
	s_add_u32 s16, s16, 1
	s_addc_u32 s17, s17, 0
	s_add_u32 s6, s6, 8
	s_addc_u32 s7, s7, 0
	;; [unrolled: 2-line block ×3, first 2 shown]
	v_add3_u32 v4, v10, v11, v4
	v_sub_co_u32 v5, vcc_lo, v5, v9
	v_sub_co_ci_u32_e32 v4, vcc_lo, v6, v4, vcc_lo
	s_waitcnt lgkmcnt(0)
	v_mul_lo_u32 v6, s1, v5
	v_mul_lo_u32 v4, s0, v4
	v_mad_u64_u32 v[1:2], null, s0, v5, v[1:2]
	v_cmp_ge_u64_e64 s0, s[16:17], s[10:11]
	s_and_b32 vcc_lo, exec_lo, s0
	v_add3_u32 v2, v6, v2, v4
	s_cbranch_vccnz .LBB0_9
; %bb.7:                                ;   in Loop: Header=BB0_2 Depth=1
	v_mov_b32_e32 v5, v7
	v_mov_b32_e32 v6, v8
	s_branch .LBB0_2
.LBB0_8:
	v_mov_b32_e32 v8, v6
	v_mov_b32_e32 v7, v5
.LBB0_9:
	s_lshl_b64 s[0:1], s[10:11], 3
	v_mul_hi_u32 v4, 0x1681682, v0
	s_add_u32 s0, s12, s0
	s_addc_u32 s1, s13, s1
	s_load_dwordx2 s[0:1], s[0:1], 0x0
	s_load_dwordx2 s[4:5], s[4:5], 0x20
	s_waitcnt lgkmcnt(0)
	v_mul_lo_u32 v5, s0, v8
	v_mul_lo_u32 v6, s1, v7
	v_mad_u64_u32 v[2:3], null, s0, v7, v[1:2]
	v_mul_u32_u24_e32 v1, 0xb6, v4
	v_cmp_gt_u64_e32 vcc_lo, s[4:5], v[7:8]
	v_sub_nc_u32_e32 v0, v0, v1
	v_add3_u32 v3, v6, v3, v5
	v_mov_b32_e32 v1, 0
	v_mov_b32_e32 v34, v0
	v_lshlrev_b64 v[32:33], 3, v[2:3]
	s_and_saveexec_b32 s1, vcc_lo
	s_cbranch_execz .LBB0_13
; %bb.10:
	v_lshlrev_b64 v[5:6], 3, v[0:1]
	v_add_co_u32 v3, s0, s2, v32
	v_add_co_ci_u32_e64 v4, s0, s3, v33, s0
	v_lshl_add_u32 v21, v0, 3, 0
	v_add_co_u32 v5, s0, v3, v5
	v_add_co_ci_u32_e64 v6, s0, v4, v6, s0
	v_mov_b32_e32 v2, v1
	v_add_co_u32 v7, s0, 0x800, v5
	v_add_co_ci_u32_e64 v8, s0, 0, v6, s0
	v_add_co_u32 v9, s0, 0x1000, v5
	v_add_co_ci_u32_e64 v10, s0, 0, v6, s0
	v_add_co_u32 v11, s0, 0x1800, v5
	v_add_co_ci_u32_e64 v12, s0, 0, v6, s0
	v_add_co_u32 v13, s0, 0x2000, v5
	v_add_co_ci_u32_e64 v14, s0, 0, v6, s0
	s_clause 0x7
	global_load_dwordx2 v[15:16], v[5:6], off
	global_load_dwordx2 v[5:6], v[5:6], off offset:1456
	global_load_dwordx2 v[7:8], v[7:8], off offset:864
	;; [unrolled: 1-line block ×7, first 2 shown]
	v_mov_b32_e32 v1, v0
	v_add_nc_u32_e32 v22, 0xa00, v21
	v_add_nc_u32_e32 v23, 0x1600, v21
	;; [unrolled: 1-line block ×3, first 2 shown]
	s_mov_b32 s4, exec_lo
	s_waitcnt vmcnt(6)
	ds_write2_b64 v21, v[15:16], v[5:6] offset1:182
	s_waitcnt vmcnt(4)
	ds_write2_b64 v22, v[7:8], v[17:18] offset0:44 offset1:226
	s_waitcnt vmcnt(2)
	ds_write2_b64 v23, v[9:10], v[11:12] offset0:24 offset1:206
	;; [unrolled: 2-line block ×3, first 2 shown]
	v_cmpx_eq_u32_e32 0xb5, v0
	s_cbranch_execz .LBB0_12
; %bb.11:
	v_add_co_u32 v0, s0, 0x2800, v3
	v_add_co_ci_u32_e64 v1, s0, 0, v4, s0
	v_mov_b32_e32 v5, 0
	global_load_dwordx2 v[3:4], v[0:1], off offset:1408
	v_mov_b32_e32 v1, 0xb5
	v_mov_b32_e32 v2, 0
	;; [unrolled: 1-line block ×3, first 2 shown]
	s_waitcnt vmcnt(0)
	ds_write_b64 v5, v[3:4] offset:11648
.LBB0_12:
	s_or_b32 exec_lo, exec_lo, s4
	v_mov_b32_e32 v34, v0
	v_mov_b32_e32 v0, v1
	;; [unrolled: 1-line block ×3, first 2 shown]
.LBB0_13:
	s_or_b32 exec_lo, exec_lo, s1
	v_lshlrev_b32_e32 v2, 3, v34
	s_waitcnt lgkmcnt(0)
	s_barrier
	buffer_gl0_inv
	v_lshlrev_b64 v[36:37], 3, v[0:1]
	v_add_nc_u32_e32 v44, 0, v2
	v_sub_nc_u32_e32 v2, 0, v2
	s_add_u32 s1, s8, 0x2d18
	s_addc_u32 s4, s9, 0
	s_mov_b32 s5, exec_lo
	ds_read_b32 v3, v44
	ds_read_b32 v4, v2 offset:11648
	s_waitcnt lgkmcnt(0)
	v_add_f32_e32 v0, v4, v3
	v_sub_f32_e32 v1, v3, v4
	v_cmpx_ne_u32_e32 0, v34
	s_xor_b32 s5, exec_lo, s5
	s_cbranch_execz .LBB0_15
; %bb.14:
	v_add_co_u32 v0, s0, s1, v36
	v_add_co_ci_u32_e64 v1, s0, s4, v37, s0
	v_add_f32_e32 v7, v4, v3
	v_sub_f32_e32 v8, v3, v4
	global_load_dwordx2 v[5:6], v[0:1], off
	ds_read_b32 v0, v2 offset:11652
	ds_read_b32 v1, v44 offset:4
	s_waitcnt lgkmcnt(0)
	v_add_f32_e32 v9, v0, v1
	v_sub_f32_e32 v0, v1, v0
	s_waitcnt vmcnt(0)
	v_fma_f32 v3, -v8, v6, v7
	v_fma_f32 v4, v9, v6, -v0
	v_fma_f32 v10, v8, v6, v7
	v_fma_f32 v1, v9, v6, v0
	v_fmac_f32_e32 v3, v5, v9
	v_fmac_f32_e32 v4, v8, v5
	v_fma_f32 v0, -v5, v9, v10
	v_fmac_f32_e32 v1, v8, v5
	ds_write_b64 v2, v[3:4] offset:11648
.LBB0_15:
	s_andn2_saveexec_b32 s0, s5
	s_cbranch_execz .LBB0_17
; %bb.16:
	v_mov_b32_e32 v5, 0
	ds_read_b64 v[3:4], v5 offset:5824
	s_waitcnt lgkmcnt(0)
	v_add_f32_e32 v3, v3, v3
	v_mul_f32_e32 v4, -2.0, v4
	ds_write_b64 v5, v[3:4] offset:5824
.LBB0_17:
	s_or_b32 exec_lo, exec_lo, s0
	v_mov_b32_e32 v35, 0
	ds_write_b64 v44, v[0:1]
	v_add_nc_u32_e32 v45, 0x2000, v44
	v_lshlrev_b64 v[38:39], 3, v[34:35]
	v_add_nc_u32_e32 v35, 0xc00, v44
	v_add_co_u32 v3, s0, s1, v38
	v_add_co_ci_u32_e64 v4, s0, s4, v39, s0
	s_mov_b32 s1, exec_lo
	v_add_co_u32 v7, s0, 0x800, v3
	global_load_dwordx2 v[5:6], v[3:4], off offset:1456
	v_add_co_ci_u32_e64 v8, s0, 0, v4, s0
	v_add_co_u32 v3, s0, 0x1000, v3
	v_add_co_ci_u32_e64 v4, s0, 0, v4, s0
	s_clause 0x1
	global_load_dwordx2 v[7:8], v[7:8], off offset:864
	global_load_dwordx2 v[3:4], v[3:4], off offset:272
	ds_read_b64 v[0:1], v44 offset:1456
	ds_read_b64 v[9:10], v2 offset:10192
	s_waitcnt lgkmcnt(0)
	v_add_f32_e32 v11, v0, v9
	v_add_f32_e32 v12, v10, v1
	v_sub_f32_e32 v13, v0, v9
	v_sub_f32_e32 v0, v1, v10
	s_waitcnt vmcnt(2)
	v_fma_f32 v14, v13, v6, v11
	v_fma_f32 v1, v12, v6, v0
	v_fma_f32 v9, -v13, v6, v11
	v_fma_f32 v10, v12, v6, -v0
	v_fma_f32 v0, -v5, v12, v14
	v_fmac_f32_e32 v1, v13, v5
	v_fmac_f32_e32 v9, v5, v12
	;; [unrolled: 1-line block ×3, first 2 shown]
	ds_write_b64 v44, v[0:1] offset:1456
	ds_write_b64 v2, v[9:10] offset:10192
	ds_read_b64 v[0:1], v44 offset:2912
	ds_read_b64 v[5:6], v2 offset:8736
	s_waitcnt lgkmcnt(0)
	v_add_f32_e32 v9, v0, v5
	v_add_f32_e32 v10, v6, v1
	v_sub_f32_e32 v11, v0, v5
	v_sub_f32_e32 v0, v1, v6
	s_waitcnt vmcnt(1)
	v_fma_f32 v12, v11, v8, v9
	v_fma_f32 v1, v10, v8, v0
	v_fma_f32 v5, -v11, v8, v9
	v_fma_f32 v6, v10, v8, -v0
	v_fma_f32 v0, -v7, v10, v12
	v_fmac_f32_e32 v1, v11, v7
	v_fmac_f32_e32 v5, v7, v10
	;; [unrolled: 1-line block ×3, first 2 shown]
	ds_write_b64 v44, v[0:1] offset:2912
	ds_write_b64 v2, v[5:6] offset:8736
	ds_read_b64 v[0:1], v44 offset:4368
	ds_read_b64 v[5:6], v2 offset:7280
	s_waitcnt lgkmcnt(0)
	v_add_f32_e32 v7, v0, v5
	v_add_f32_e32 v8, v6, v1
	v_sub_f32_e32 v9, v0, v5
	v_sub_f32_e32 v0, v1, v6
	s_waitcnt vmcnt(0)
	v_fma_f32 v10, v9, v4, v7
	v_fma_f32 v1, v8, v4, v0
	v_fma_f32 v5, -v9, v4, v7
	v_fma_f32 v6, v8, v4, -v0
	v_add_nc_u32_e32 v4, 0x400, v44
	v_fma_f32 v0, -v3, v8, v10
	v_fmac_f32_e32 v1, v9, v3
	v_fmac_f32_e32 v5, v3, v8
	;; [unrolled: 1-line block ×3, first 2 shown]
	ds_write_b64 v44, v[0:1] offset:4368
	ds_write_b64 v2, v[5:6] offset:7280
	s_waitcnt lgkmcnt(0)
	s_barrier
	buffer_gl0_inv
	s_barrier
	buffer_gl0_inv
	ds_read2_b64 v[16:19], v44 offset1:112
	ds_read_b64 v[2:3], v44 offset:10752
	ds_read2_b64 v[24:27], v4 offset0:96 offset1:208
	ds_read2_b64 v[8:11], v45 offset0:96 offset1:208
	v_add_nc_u32_e32 v0, 0x1800, v44
	ds_read2_b64 v[20:23], v35 offset0:64 offset1:176
	ds_read2_b64 v[12:15], v0 offset0:128 offset1:240
	v_add_nc_u32_e32 v0, 0x1400, v44
	ds_read2_b64 v[28:31], v0 offset0:32 offset1:144
	s_waitcnt lgkmcnt(0)
	s_barrier
	buffer_gl0_inv
	v_sub_f32_e32 v111, v18, v2
	v_sub_f32_e32 v124, v19, v3
	v_add_f32_e32 v102, v2, v18
	v_add_f32_e32 v101, v3, v19
	v_sub_f32_e32 v110, v24, v10
	v_sub_f32_e32 v123, v25, v11
	v_mul_f32_e32 v55, 0xbeedf032, v124
	v_mul_f32_e32 v57, 0xbeedf032, v111
	;; [unrolled: 1-line block ×4, first 2 shown]
	v_add_f32_e32 v92, v10, v24
	v_add_f32_e32 v95, v11, v25
	v_sub_f32_e32 v107, v26, v8
	v_mul_f32_e32 v54, 0xbf52af12, v123
	v_mul_f32_e32 v56, 0xbf52af12, v110
	;; [unrolled: 1-line block ×7, first 2 shown]
	v_fmamk_f32 v0, v102, 0x3f62ad3f, v55
	v_fma_f32 v1, 0x3f62ad3f, v101, -v57
	v_fma_f32 v134, 0x3f116cb1, v101, -v70
	;; [unrolled: 1-line block ×3, first 2 shown]
	v_add_f32_e32 v87, v9, v27
	v_sub_f32_e32 v119, v27, v9
	v_mul_f32_e32 v62, 0xbf6f5d39, v123
	v_mul_f32_e32 v65, 0xbe750f2a, v107
	v_mul_f32_e32 v80, 0xbe750f2a, v123
	v_mul_f32_e32 v97, 0x3f29c268, v123
	v_mul_f32_e32 v109, 0xbf6f5d39, v111
	v_mul_f32_e32 v122, 0xbf29c268, v124
	v_mul_f32_e32 v129, 0xbf29c268, v111
	v_fmamk_f32 v4, v92, 0x3f116cb1, v54
	v_fma_f32 v5, 0x3f116cb1, v95, -v56
	v_fmamk_f32 v132, v102, 0x3f116cb1, v63
	v_fma_f32 v135, 0xbeb58ec6, v95, -v68
	v_fmamk_f32 v138, v102, 0x3df6dbef, v81
	v_add_f32_e32 v0, v16, v0
	v_fma_f32 v141, 0xbf788fa5, v95, -v88
	v_add_f32_e32 v1, v17, v1
	v_fmamk_f32 v142, v102, 0xbeb58ec6, v96
	v_add_f32_e32 v134, v17, v134
	v_add_f32_e32 v140, v17, v140
	;; [unrolled: 1-line block ×3, first 2 shown]
	v_sub_f32_e32 v106, v20, v14
	v_sub_f32_e32 v118, v21, v15
	v_mul_f32_e32 v53, 0xbf7e222b, v107
	v_mul_f32_e32 v64, 0xbe750f2a, v119
	;; [unrolled: 1-line block ×6, first 2 shown]
	v_fmamk_f32 v133, v92, 0xbeb58ec6, v62
	v_fma_f32 v137, 0xbf788fa5, v87, -v65
	v_fmamk_f32 v139, v92, 0xbf788fa5, v80
	v_add_f32_e32 v0, v4, v0
	v_fmamk_f32 v4, v92, 0xbf3f9e67, v97
	v_add_f32_e32 v132, v16, v132
	v_add_f32_e32 v1, v5, v1
	v_fma_f32 v5, 0xbeb58ec6, v101, -v109
	v_add_f32_e32 v138, v16, v138
	v_add_f32_e32 v134, v135, v134
	v_fmamk_f32 v135, v102, 0xbf3f9e67, v122
	v_add_f32_e32 v142, v16, v142
	v_add_f32_e32 v140, v141, v140
	v_fma_f32 v141, 0xbf3f9e67, v101, -v129
	v_add_f32_e32 v75, v14, v20
	v_add_f32_e32 v76, v15, v21
	v_mul_f32_e32 v52, 0xbf7e222b, v119
	v_mul_f32_e32 v59, 0x3f29c268, v118
	;; [unrolled: 1-line block ×6, first 2 shown]
	v_fma_f32 v7, 0x3df6dbef, v87, -v53
	v_fmamk_f32 v136, v86, 0xbf788fa5, v64
	v_add_f32_e32 v132, v133, v132
	v_fma_f32 v133, 0xbf3f9e67, v95, -v108
	v_add_f32_e32 v138, v139, v138
	v_fmamk_f32 v139, v92, 0x3df6dbef, v121
	v_add_f32_e32 v5, v17, v5
	v_add_f32_e32 v135, v16, v135
	;; [unrolled: 1-line block ×3, first 2 shown]
	v_fma_f32 v142, 0x3df6dbef, v95, -v128
	v_add_f32_e32 v141, v17, v141
	v_add_f32_e32 v134, v137, v134
	v_fmamk_f32 v137, v86, 0x3f62ad3f, v93
	v_sub_f32_e32 v113, v23, v13
	v_sub_f32_e32 v105, v22, v12
	v_mul_f32_e32 v49, 0xbf6f5d39, v118
	v_mul_f32_e32 v78, 0x3eedf032, v118
	;; [unrolled: 1-line block ×6, first 2 shown]
	v_fmamk_f32 v6, v86, 0x3df6dbef, v52
	v_add_f32_e32 v5, v133, v5
	v_fmamk_f32 v133, v75, 0xbf3f9e67, v59
	v_add_f32_e32 v135, v139, v135
	v_fma_f32 v139, 0xbf3f9e67, v76, -v66
	v_add_f32_e32 v141, v142, v141
	v_add_f32_e32 v1, v7, v1
	v_fmamk_f32 v7, v86, 0xbeb58ec6, v79
	v_add_f32_e32 v132, v136, v132
	v_fma_f32 v136, 0xbeb58ec6, v87, -v85
	v_add_f32_e32 v4, v137, v4
	v_fma_f32 v137, 0x3f116cb1, v87, -v127
	v_add_f32_e32 v69, v12, v22
	v_add_f32_e32 v71, v13, v23
	v_mul_f32_e32 v51, 0xbf6f5d39, v106
	v_mul_f32_e32 v48, 0xbf29c268, v113
	;; [unrolled: 1-line block ×7, first 2 shown]
	v_fmamk_f32 v40, v75, 0xbeb58ec6, v49
	v_add_f32_e32 v0, v6, v0
	v_add_f32_e32 v7, v7, v138
	v_fma_f32 v138, 0x3f62ad3f, v87, -v103
	v_add_f32_e32 v136, v136, v140
	v_fmamk_f32 v140, v86, 0x3f116cb1, v120
	v_add_f32_e32 v137, v137, v141
	v_fmamk_f32 v141, v75, 0x3f62ad3f, v78
	v_add_f32_e32 v132, v133, v132
	v_fma_f32 v133, 0x3f62ad3f, v76, -v84
	v_add_f32_e32 v134, v139, v134
	v_fmamk_f32 v139, v75, 0x3df6dbef, v94
	v_sub_f32_e32 v116, v29, v31
	v_sub_f32_e32 v104, v28, v30
	v_mul_f32_e32 v50, 0xbf29c268, v105
	v_mul_f32_e32 v60, 0x3f7e222b, v113
	v_mul_f32_e32 v83, 0xbf52af12, v105
	v_mul_f32_e32 v91, 0x3e750f2a, v113
	v_mul_f32_e32 v99, 0x3e750f2a, v105
	v_mul_f32_e32 v114, 0x3eedf032, v113
	v_mul_f32_e32 v125, 0x3eedf032, v105
	v_fma_f32 v41, 0xbeb58ec6, v76, -v51
	v_fmamk_f32 v42, v69, 0xbf3f9e67, v48
	v_fma_f32 v6, 0x3df6dbef, v71, -v67
	v_add_f32_e32 v5, v138, v5
	v_add_f32_e32 v135, v140, v135
	;; [unrolled: 1-line block ×3, first 2 shown]
	v_fmamk_f32 v40, v69, 0x3f116cb1, v77
	v_add_f32_e32 v7, v141, v7
	v_fma_f32 v141, 0x3df6dbef, v76, -v100
	v_add_f32_e32 v133, v133, v136
	v_fmamk_f32 v136, v75, 0xbf788fa5, v117
	v_add_f32_e32 v4, v139, v4
	v_fma_f32 v139, 0xbf788fa5, v76, -v126
	v_add_f32_e32 v72, v30, v28
	v_add_f32_e32 v73, v31, v29
	v_mul_f32_e32 v46, 0xbe750f2a, v116
	v_mul_f32_e32 v47, 0xbe750f2a, v104
	;; [unrolled: 1-line block ×10, first 2 shown]
	v_fma_f32 v43, 0xbf3f9e67, v71, -v50
	v_fmamk_f32 v142, v69, 0x3df6dbef, v60
	v_add_f32_e32 v1, v41, v1
	v_add_f32_e32 v5, v141, v5
	v_fma_f32 v141, 0x3f116cb1, v71, -v83
	v_add_f32_e32 v135, v136, v135
	v_add_f32_e32 v137, v139, v137
	v_fmamk_f32 v139, v69, 0xbf788fa5, v91
	v_add_f32_e32 v0, v42, v0
	v_fma_f32 v42, 0xbf788fa5, v71, -v99
	v_add_f32_e32 v134, v6, v134
	v_fmamk_f32 v6, v69, 0x3f62ad3f, v114
	v_add_f32_e32 v40, v40, v7
	v_fma_f32 v7, 0x3f62ad3f, v71, -v125
	v_fmamk_f32 v130, v72, 0xbf788fa5, v46
	v_fma_f32 v131, 0xbf788fa5, v73, -v47
	v_fmamk_f32 v138, v72, 0x3f62ad3f, v58
	;; [unrolled: 2-line block ×3, first 2 shown]
	v_fma_f32 v136, 0xbf3f9e67, v73, -v82
	v_add_f32_e32 v1, v43, v1
	v_fmamk_f32 v43, v72, 0x3f116cb1, v89
	v_add_f32_e32 v132, v142, v132
	v_fma_f32 v142, 0x3f116cb1, v73, -v98
	v_add_f32_e32 v133, v141, v133
	v_fmamk_f32 v141, v72, 0xbeb58ec6, v112
	v_add_f32_e32 v139, v139, v4
	v_fma_f32 v143, 0xbeb58ec6, v73, -v115
	v_add_f32_e32 v42, v42, v5
	v_add_f32_e32 v135, v6, v135
	;; [unrolled: 1-line block ×13, first 2 shown]
	v_cmpx_gt_u32_e32 0x70, v34
	s_cbranch_execz .LBB0_19
; %bb.18:
	v_mul_f32_e32 v130, 0xbf788fa5, v101
	v_mul_f32_e32 v124, 0xbe750f2a, v124
	;; [unrolled: 1-line block ×5, first 2 shown]
	v_fmamk_f32 v133, v111, 0x3e750f2a, v130
	v_fmamk_f32 v134, v102, 0xbf788fa5, v124
	v_mul_f32_e32 v119, 0xbf29c268, v119
	v_fmamk_f32 v136, v110, 0xbeedf032, v131
	v_fmamk_f32 v137, v92, 0x3f62ad3f, v123
	v_add_f32_e32 v133, v17, v133
	v_add_f32_e32 v134, v16, v134
	v_mul_f32_e32 v135, 0x3f116cb1, v76
	v_mul_f32_e32 v118, 0x3f52af12, v118
	v_fmamk_f32 v138, v107, 0x3f29c268, v132
	v_add_f32_e32 v133, v136, v133
	v_fmamk_f32 v136, v86, 0xbf3f9e67, v119
	v_add_f32_e32 v134, v137, v134
	v_fmamk_f32 v137, v106, 0xbf52af12, v135
	v_fmamk_f32 v139, v75, 0x3f116cb1, v118
	v_add_f32_e32 v133, v138, v133
	v_mul_f32_e32 v113, 0xbf6f5d39, v113
	v_add_f32_e32 v134, v136, v134
	v_mul_f32_e32 v136, 0xbeb58ec6, v71
	v_fmac_f32_e32 v130, 0xbe750f2a, v111
	v_add_f32_e32 v133, v137, v133
	v_fmamk_f32 v111, v69, 0xbeb58ec6, v113
	v_add_f32_e32 v134, v139, v134
	v_fmamk_f32 v137, v105, 0x3f6f5d39, v136
	v_fmac_f32_e32 v131, 0x3eedf032, v110
	v_mul_f32_e32 v116, 0x3f7e222b, v116
	v_add_f32_e32 v110, v17, v130
	v_fma_f32 v124, 0xbf788fa5, v102, -v124
	v_add_f32_e32 v130, v137, v133
	v_add_f32_e32 v133, v111, v134
	v_fmamk_f32 v134, v72, 0x3df6dbef, v116
	v_add_f32_e32 v131, v131, v110
	v_fmac_f32_e32 v132, 0xbf29c268, v107
	v_add_f32_e32 v124, v16, v124
	v_fma_f32 v123, 0x3f62ad3f, v92, -v123
	v_mul_f32_e32 v107, 0x3f62ad3f, v101
	v_add_f32_e32 v110, v134, v133
	v_mul_f32_e32 v133, 0x3f116cb1, v101
	v_add_f32_e32 v131, v132, v131
	v_fmac_f32_e32 v135, 0x3f52af12, v106
	v_mul_f32_e32 v132, 0x3df6dbef, v101
	v_fmac_f32_e32 v136, 0xbf6f5d39, v105
	v_mul_f32_e32 v105, 0xbeb58ec6, v101
	v_add_f32_e32 v123, v123, v124
	v_fma_f32 v119, 0xbf3f9e67, v86, -v119
	v_mul_f32_e32 v101, 0xbf3f9e67, v101
	v_mul_f32_e32 v138, 0x3df6dbef, v73
	v_add_f32_e32 v131, v135, v131
	v_mul_f32_e32 v135, 0x3df6dbef, v95
	v_add_f32_e32 v119, v119, v123
	v_add_f32_e32 v101, v129, v101
	v_fma_f32 v118, 0x3f116cb1, v75, -v118
	v_fmamk_f32 v111, v104, 0xbf7e222b, v138
	v_add_f32_e32 v128, v128, v135
	v_fmac_f32_e32 v138, 0x3f7e222b, v104
	v_add_f32_e32 v101, v17, v101
	v_mul_f32_e32 v104, 0x3f116cb1, v87
	v_add_f32_e32 v118, v118, v119
	v_fma_f32 v113, 0xbeb58ec6, v69, -v113
	v_mul_f32_e32 v137, 0x3f62ad3f, v102
	v_add_f32_e32 v111, v111, v130
	v_mul_f32_e32 v130, 0x3f116cb1, v102
	v_mul_f32_e32 v106, 0x3df6dbef, v102
	v_mul_f32_e32 v134, 0xbeb58ec6, v102
	v_mul_f32_e32 v102, 0xbf3f9e67, v102
	v_add_f32_e32 v101, v128, v101
	v_add_f32_e32 v104, v127, v104
	;; [unrolled: 1-line block ×3, first 2 shown]
	v_mul_f32_e32 v118, 0xbf788fa5, v76
	v_mul_f32_e32 v124, 0x3f116cb1, v92
	;; [unrolled: 1-line block ×6, first 2 shown]
	v_add_f32_e32 v101, v104, v101
	v_sub_f32_e32 v102, v102, v122
	v_add_f32_e32 v118, v126, v118
	v_mul_f32_e32 v126, 0x3f62ad3f, v71
	v_sub_f32_e32 v92, v92, v121
	v_mul_f32_e32 v123, 0x3f116cb1, v95
	v_add_f32_e32 v102, v16, v102
	v_add_f32_e32 v101, v118, v101
	v_mul_f32_e32 v118, 0x3f116cb1, v86
	v_add_f32_e32 v125, v125, v126
	v_mul_f32_e32 v135, 0xbeb58ec6, v95
	;; [unrolled: 2-line block ×3, first 2 shown]
	v_sub_f32_e32 v118, v118, v120
	v_add_f32_e32 v101, v125, v101
	v_mul_f32_e32 v125, 0xbf788fa5, v75
	v_mul_f32_e32 v95, 0xbf3f9e67, v95
	v_add_f32_e32 v105, v109, v105
	v_add_f32_e32 v92, v118, v92
	v_mul_f32_e32 v122, 0x3df6dbef, v87
	v_sub_f32_e32 v117, v125, v117
	v_mul_f32_e32 v125, 0x3f62ad3f, v69
	v_mul_f32_e32 v126, 0xbf788fa5, v87
	;; [unrolled: 1-line block ×4, first 2 shown]
	v_add_f32_e32 v92, v117, v92
	v_mul_f32_e32 v117, 0xbeb58ec6, v73
	v_add_f32_e32 v95, v108, v95
	v_add_f32_e32 v105, v17, v105
	v_sub_f32_e32 v114, v125, v114
	v_add_f32_e32 v131, v136, v131
	v_add_f32_e32 v115, v115, v117
	v_mul_f32_e32 v117, 0xbeb58ec6, v72
	v_mul_f32_e32 v118, 0xbeb58ec6, v75
	;; [unrolled: 1-line block ×3, first 2 shown]
	v_add_f32_e32 v95, v95, v105
	v_mul_f32_e32 v105, 0x3f62ad3f, v75
	v_add_f32_e32 v92, v114, v92
	v_mul_f32_e32 v136, 0x3df6dbef, v75
	v_sub_f32_e32 v75, v117, v112
	v_add_f32_e32 v87, v103, v87
	v_mul_f32_e32 v109, 0xbeb58ec6, v76
	v_mul_f32_e32 v125, 0xbf3f9e67, v76
	;; [unrolled: 1-line block ×6, first 2 shown]
	v_add_f32_e32 v76, v115, v101
	v_add_f32_e32 v75, v75, v92
	v_mul_f32_e32 v92, 0x3df6dbef, v69
	v_mul_f32_e32 v101, 0x3df6dbef, v71
	v_add_f32_e32 v87, v87, v95
	v_mul_f32_e32 v95, 0x3f116cb1, v69
	v_mul_f32_e32 v115, 0x3f116cb1, v71
	;; [unrolled: 1-line block ×4, first 2 shown]
	v_sub_f32_e32 v71, v134, v96
	v_add_f32_e32 v70, v70, v133
	v_mul_f32_e32 v104, 0x3df6dbef, v86
	v_mul_f32_e32 v121, 0xbf788fa5, v86
	;; [unrolled: 1-line block ×4, first 2 shown]
	v_add_f32_e32 v100, v100, v139
	v_sub_f32_e32 v97, v127, v97
	v_add_f32_e32 v71, v16, v71
	v_add_f32_e32 v70, v17, v70
	;; [unrolled: 1-line block ×5, first 2 shown]
	v_mul_f32_e32 v127, 0xbf788fa5, v73
	v_add_f32_e32 v87, v100, v87
	v_add_f32_e32 v99, v99, v69
	v_mul_f32_e32 v134, 0x3f62ad3f, v73
	v_add_f32_e32 v71, v97, v71
	v_mul_f32_e32 v97, 0xbf3f9e67, v73
	v_mul_f32_e32 v73, 0x3f116cb1, v73
	v_sub_f32_e32 v86, v86, v93
	v_sub_f32_e32 v81, v106, v81
	v_add_f32_e32 v68, v68, v70
	v_add_f32_e32 v65, v65, v126
	;; [unrolled: 1-line block ×6, first 2 shown]
	v_sub_f32_e32 v86, v136, v94
	v_add_f32_e32 v73, v98, v73
	v_add_f32_e32 v81, v16, v81
	v_sub_f32_e32 v80, v119, v80
	v_add_f32_e32 v65, v65, v68
	v_add_f32_e32 v66, v66, v125
	;; [unrolled: 1-line block ×7, first 2 shown]
	v_sub_f32_e32 v79, v102, v79
	v_add_f32_e32 v65, v66, v65
	v_add_f32_e32 v66, v67, v101
	;; [unrolled: 1-line block ×5, first 2 shown]
	v_sub_f32_e32 v78, v105, v78
	v_add_f32_e32 v65, v66, v65
	v_add_f32_e32 v24, v61, v134
	;; [unrolled: 1-line block ×5, first 2 shown]
	v_mul_f32_e32 v132, 0xbf3f9e67, v72
	v_add_f32_e32 v73, v78, v73
	v_sub_f32_e32 v77, v95, v77
	v_sub_f32_e32 v63, v130, v63
	v_add_f32_e32 v18, v24, v65
	v_add_f32_e32 v24, v57, v107
	v_sub_f32_e32 v21, v137, v55
	v_add_f32_e32 v19, v19, v29
	v_add_f32_e32 v20, v20, v28
	v_add_f32_e32 v90, v17, v90
	v_add_f32_e32 v70, v77, v73
	v_sub_f32_e32 v73, v132, v74
	v_add_f32_e32 v74, v16, v63
	v_add_f32_e32 v17, v17, v24
	;; [unrolled: 5-line block ×3, first 2 shown]
	v_add_f32_e32 v88, v88, v128
	v_sub_f32_e32 v77, v129, v62
	v_add_f32_e32 v17, v24, v17
	v_add_f32_e32 v22, v53, v122
	;; [unrolled: 1-line block ×3, first 2 shown]
	v_sub_f32_e32 v21, v104, v52
	v_add_f32_e32 v13, v19, v13
	v_add_f32_e32 v12, v20, v12
	;; [unrolled: 1-line block ×5, first 2 shown]
	v_sub_f32_e32 v64, v121, v64
	v_add_f32_e32 v17, v22, v17
	v_add_f32_e32 v22, v51, v109
	;; [unrolled: 1-line block ×3, first 2 shown]
	v_sub_f32_e32 v19, v118, v49
	v_add_f32_e32 v13, v13, v15
	v_add_f32_e32 v12, v12, v14
	;; [unrolled: 1-line block ×5, first 2 shown]
	v_sub_f32_e32 v59, v108, v59
	v_mul_f32_e32 v96, 0xbf788fa5, v72
	v_add_f32_e32 v17, v22, v17
	v_add_f32_e32 v20, v50, v103
	;; [unrolled: 1-line block ×3, first 2 shown]
	v_sub_f32_e32 v15, v112, v48
	v_add_f32_e32 v9, v13, v9
	v_add_f32_e32 v8, v12, v8
	v_mul_f32_e32 v100, 0x3f62ad3f, v72
	v_add_f32_e32 v81, v84, v85
	v_add_f32_e32 v83, v83, v115
	;; [unrolled: 1-line block ×3, first 2 shown]
	v_sub_f32_e32 v59, v92, v60
	v_fma_f32 v116, 0x3df6dbef, v72, -v116
	v_mul_f32_e32 v72, 0x3f116cb1, v72
	v_sub_f32_e32 v90, v117, v91
	v_add_f32_e32 v16, v20, v17
	v_add_f32_e32 v12, v47, v127
	;; [unrolled: 1-line block ×3, first 2 shown]
	v_sub_f32_e32 v14, v96, v46
	v_add_f32_e32 v11, v9, v11
	v_add_f32_e32 v10, v8, v10
	;; [unrolled: 1-line block ×5, first 2 shown]
	v_sub_f32_e32 v15, v100, v58
	v_add_f32_e32 v80, v90, v86
	v_sub_f32_e32 v72, v72, v89
	v_add_f32_e32 v9, v12, v16
	v_add_f32_e32 v8, v14, v13
	v_add_f32_e32 v3, v11, v3
	v_add_f32_e32 v2, v10, v2
	v_mad_u32_u24 v10, 0x60, v34, v44
	v_add_f32_e32 v63, v78, v79
	v_add_f32_e32 v62, v73, v70
	;; [unrolled: 1-line block ×6, first 2 shown]
	ds_write2_b64 v10, v[2:3], v[8:9] offset1:1
	ds_write2_b64 v10, v[17:18], v[62:63] offset0:2 offset1:3
	ds_write2_b64 v10, v[70:71], v[75:76] offset0:4 offset1:5
	;; [unrolled: 1-line block ×5, first 2 shown]
	ds_write_b64 v10, v[0:1] offset:96
.LBB0_19:
	s_or_b32 exec_lo, exec_lo, s1
	v_and_b32_e32 v2, 0xff, v34
	v_add_nc_u32_e32 v26, 0xb6, v34
	v_mov_b32_e32 v28, 3
	s_waitcnt lgkmcnt(0)
	s_barrier
	v_mul_lo_u16 v29, 0x4f, v2
	v_mov_b32_e32 v2, 0x4ec5
	buffer_gl0_inv
	v_add_nc_u32_e32 v20, 0x1600, v44
	v_mov_b32_e32 v51, 0x1a0
	v_lshrrev_b16 v30, 10, v29
	v_mul_u32_u24_sdwa v27, v26, v2 dst_sel:DWORD dst_unused:UNUSED_PAD src0_sel:WORD_0 src1_sel:DWORD
	v_add_nc_u32_e32 v55, 0x1a00, v44
	v_cmp_gt_u32_e64 s0, 26, v34
	v_mul_lo_u16 v2, v30, 13
	v_lshrrev_b32_e32 v31, 18, v27
	v_mul_u32_u24_sdwa v30, v30, v51 dst_sel:DWORD dst_unused:UNUSED_PAD src0_sel:WORD_0 src1_sel:DWORD
	v_sub_nc_u16 v49, v34, v2
	v_mul_lo_u16 v2, v31, 13
	v_mul_u32_u24_e32 v31, 0x1a0, v31
	v_mul_u32_u24_sdwa v3, v49, v28 dst_sel:DWORD dst_unused:UNUSED_PAD src0_sel:BYTE_0 src1_sel:DWORD
	v_sub_nc_u16 v50, v26, v2
	v_lshlrev_b32_sdwa v53, v28, v49 dst_sel:DWORD dst_unused:UNUSED_PAD src0_sel:DWORD src1_sel:BYTE_0
	v_lshlrev_b32_e32 v2, 3, v3
	v_mul_u32_u24_sdwa v3, v50, v28 dst_sel:DWORD dst_unused:UNUSED_PAD src0_sel:WORD_0 src1_sel:DWORD
	v_lshlrev_b32_sdwa v54, v28, v50 dst_sel:DWORD dst_unused:UNUSED_PAD src0_sel:DWORD src1_sel:WORD_0
	v_add3_u32 v30, 0, v30, v53
	global_load_dwordx4 v[8:11], v2, s[8:9]
	v_lshlrev_b32_e32 v16, 3, v3
	v_add3_u32 v31, 0, v31, v54
	s_clause 0x2
	global_load_dwordx2 v[2:3], v2, s[8:9] offset:16
	global_load_dwordx4 v[12:15], v16, s[8:9]
	global_load_dwordx2 v[24:25], v16, s[8:9] offset:16
	v_add_nc_u32_e32 v16, 0xa00, v44
	ds_read2_b64 v[16:19], v16 offset0:44 offset1:226
	ds_read2_b64 v[20:23], v20 offset0:24 offset1:206
	;; [unrolled: 1-line block ×3, first 2 shown]
	ds_read2_b64 v[49:52], v44 offset1:182
	s_waitcnt vmcnt(0) lgkmcnt(0)
	s_barrier
	buffer_gl0_inv
	v_mul_f32_e32 v53, v9, v17
	v_mul_f32_e32 v9, v9, v16
	;; [unrolled: 1-line block ×12, first 2 shown]
	v_fma_f32 v16, v8, v16, -v53
	v_fmac_f32_e32 v9, v8, v17
	v_fma_f32 v8, v10, v20, -v54
	v_fmac_f32_e32 v11, v10, v21
	;; [unrolled: 2-line block ×6, first 2 shown]
	v_sub_f32_e32 v14, v49, v8
	v_sub_f32_e32 v18, v50, v11
	;; [unrolled: 1-line block ×8, first 2 shown]
	v_fma_f32 v21, v49, 2.0, -v14
	v_fma_f32 v22, v50, 2.0, -v18
	;; [unrolled: 1-line block ×4, first 2 shown]
	v_sub_f32_e32 v2, v14, v3
	v_fma_f32 v23, v51, 2.0, -v19
	v_fma_f32 v24, v52, 2.0, -v20
	;; [unrolled: 1-line block ×4, first 2 shown]
	v_add_f32_e32 v3, v18, v8
	v_sub_f32_e32 v8, v19, v11
	v_add_f32_e32 v9, v20, v10
	v_sub_f32_e32 v10, v21, v12
	v_sub_f32_e32 v11, v22, v15
	v_fma_f32 v12, v14, 2.0, -v2
	v_sub_f32_e32 v14, v23, v16
	v_sub_f32_e32 v15, v24, v17
	v_fma_f32 v13, v18, 2.0, -v3
	v_fma_f32 v16, v19, 2.0, -v8
	;; [unrolled: 1-line block ×7, first 2 shown]
	ds_write2_b64 v30, v[10:11], v[2:3] offset0:26 offset1:39
	ds_write2_b64 v30, v[18:19], v[12:13] offset1:13
	ds_write2_b64 v31, v[20:21], v[16:17] offset1:13
	ds_write2_b64 v31, v[14:15], v[8:9] offset0:26 offset1:39
	s_waitcnt lgkmcnt(0)
	s_barrier
	buffer_gl0_inv
	ds_read2_b64 v[12:15], v44 offset1:208
	ds_read2_b64 v[20:23], v35 offset0:32 offset1:240
	ds_read2_b64 v[16:19], v55 offset1:208
	ds_read_b64 v[24:25], v44 offset:9984
	s_and_saveexec_b32 s1, s0
	s_cbranch_execz .LBB0_21
; %bb.20:
	v_add_nc_u32_e32 v0, 0x500, v44
	v_add_nc_u32_e32 v1, 0x1000, v44
	;; [unrolled: 1-line block ×3, first 2 shown]
	ds_read2_b64 v[8:11], v0 offset0:22 offset1:230
	v_add_nc_u32_e32 v0, 0x2600, v44
	ds_read2_b32 v[40:41], v1 offset0:172 offset1:173
	ds_read2_b64 v[4:7], v2 offset0:38 offset1:246
	ds_read2_b64 v[0:3], v0 offset0:6 offset1:214
	s_waitcnt lgkmcnt(3)
	v_mov_b32_e32 v43, v11
	v_mov_b32_e32 v42, v10
.LBB0_21:
	s_or_b32 exec_lo, exec_lo, s1
	v_lshrrev_b16 v10, 12, v29
	v_mov_b32_e32 v29, 6
	v_mul_lo_u16 v11, v10, 52
	v_sub_nc_u16 v11, v34, v11
	v_mul_u32_u24_sdwa v29, v11, v29 dst_sel:DWORD dst_unused:UNUSED_PAD src0_sel:BYTE_0 src1_sel:DWORD
	v_lshlrev_b32_sdwa v11, v28, v11 dst_sel:DWORD dst_unused:UNUSED_PAD src0_sel:DWORD src1_sel:BYTE_0
	v_lshlrev_b32_e32 v29, 3, v29
	s_clause 0x2
	global_load_dwordx4 v[45:48], v29, s[8:9] offset:312
	global_load_dwordx4 v[49:52], v29, s[8:9] offset:328
	;; [unrolled: 1-line block ×3, first 2 shown]
	v_mov_b32_e32 v29, 0xb60
	s_waitcnt vmcnt(0) lgkmcnt(0)
	s_barrier
	buffer_gl0_inv
	v_mul_u32_u24_sdwa v10, v10, v29 dst_sel:DWORD dst_unused:UNUSED_PAD src0_sel:WORD_0 src1_sel:DWORD
	v_add3_u32 v28, 0, v10, v11
	v_add_nc_u32_e32 v29, 0x400, v28
	v_mul_f32_e32 v10, v46, v15
	v_mul_f32_e32 v11, v46, v14
	;; [unrolled: 1-line block ×12, first 2 shown]
	v_fma_f32 v10, v45, v14, -v10
	v_fmac_f32_e32 v11, v45, v15
	v_fma_f32 v14, v47, v20, -v30
	v_fmac_f32_e32 v31, v47, v21
	;; [unrolled: 2-line block ×3, first 2 shown]
	v_fmac_f32_e32 v50, v51, v17
	v_fma_f32 v17, v53, v18, -v52
	v_fmac_f32_e32 v54, v53, v19
	v_fma_f32 v15, v49, v22, -v35
	v_fmac_f32_e32 v46, v49, v23
	v_fma_f32 v16, v51, v16, -v48
	v_add_f32_e32 v18, v10, v20
	v_add_f32_e32 v19, v11, v56
	v_sub_f32_e32 v10, v10, v20
	v_add_f32_e32 v20, v14, v17
	v_add_f32_e32 v21, v31, v54
	v_sub_f32_e32 v14, v14, v17
	v_sub_f32_e32 v17, v31, v54
	v_add_f32_e32 v22, v15, v16
	v_add_f32_e32 v23, v46, v50
	v_sub_f32_e32 v15, v16, v15
	v_sub_f32_e32 v16, v50, v46
	v_add_f32_e32 v24, v20, v18
	v_add_f32_e32 v25, v21, v19
	v_sub_f32_e32 v11, v11, v56
	v_sub_f32_e32 v30, v20, v18
	v_sub_f32_e32 v31, v21, v19
	;; [unrolled: 1-line block ×6, first 2 shown]
	v_add_f32_e32 v35, v15, v14
	v_add_f32_e32 v45, v16, v17
	v_sub_f32_e32 v46, v15, v14
	v_sub_f32_e32 v47, v16, v17
	;; [unrolled: 1-line block ×3, first 2 shown]
	v_add_f32_e32 v22, v22, v24
	v_add_f32_e32 v23, v23, v25
	v_sub_f32_e32 v17, v17, v11
	v_sub_f32_e32 v15, v10, v15
	;; [unrolled: 1-line block ×3, first 2 shown]
	v_add_f32_e32 v24, v35, v10
	v_add_f32_e32 v25, v45, v11
	v_mul_f32_e32 v18, 0x3f4a47b2, v18
	v_mul_f32_e32 v19, 0x3f4a47b2, v19
	;; [unrolled: 1-line block ×7, first 2 shown]
	v_add_f32_e32 v10, v22, v12
	v_add_f32_e32 v11, v23, v13
	v_mul_f32_e32 v49, 0x3f5ff5aa, v17
	v_fmamk_f32 v12, v20, 0x3d64c772, v18
	v_fmamk_f32 v13, v21, 0x3d64c772, v19
	v_fma_f32 v20, 0x3f3bfb3b, v30, -v35
	v_fma_f32 v21, 0x3f3bfb3b, v31, -v45
	v_fma_f32 v18, 0xbf3bfb3b, v30, -v18
	v_fma_f32 v19, 0xbf3bfb3b, v31, -v19
	v_fmamk_f32 v30, v15, 0x3eae86e6, v46
	v_fmamk_f32 v31, v16, 0x3eae86e6, v47
	v_fma_f32 v35, 0x3f5ff5aa, v14, -v46
	v_fma_f32 v46, 0xbeae86e6, v15, -v48
	v_fmamk_f32 v14, v22, 0xbf955555, v10
	v_fmamk_f32 v15, v23, 0xbf955555, v11
	v_fma_f32 v45, 0x3f5ff5aa, v17, -v47
	v_fma_f32 v47, 0xbeae86e6, v16, -v49
	v_fmac_f32_e32 v30, 0x3ee1c552, v24
	v_fmac_f32_e32 v31, 0x3ee1c552, v25
	v_add_f32_e32 v22, v12, v14
	v_add_f32_e32 v23, v13, v15
	v_fmac_f32_e32 v35, 0x3ee1c552, v24
	v_fmac_f32_e32 v45, 0x3ee1c552, v25
	;; [unrolled: 1-line block ×4, first 2 shown]
	v_add_f32_e32 v20, v20, v14
	v_add_f32_e32 v24, v18, v14
	;; [unrolled: 1-line block ×5, first 2 shown]
	v_sub_f32_e32 v13, v23, v30
	v_add_f32_e32 v14, v47, v24
	v_sub_f32_e32 v15, v25, v46
	v_sub_f32_e32 v16, v20, v45
	v_add_f32_e32 v17, v35, v19
	v_add_f32_e32 v18, v45, v20
	v_sub_f32_e32 v19, v19, v35
	v_sub_f32_e32 v20, v24, v47
	v_add_f32_e32 v21, v46, v25
	v_sub_f32_e32 v22, v22, v31
	v_add_f32_e32 v23, v30, v23
	ds_write2_b64 v28, v[10:11], v[12:13] offset1:52
	ds_write2_b64 v28, v[14:15], v[16:17] offset0:104 offset1:156
	ds_write2_b64 v29, v[18:19], v[20:21] offset0:80 offset1:132
	ds_write_b64 v28, v[22:23] offset:2496
	s_and_saveexec_b32 s1, s0
	s_cbranch_execz .LBB0_23
; %bb.22:
	v_lshrrev_b32_e32 v10, 20, v27
	v_mul_lo_u16 v10, v10, 52
	v_sub_nc_u16 v10, v26, v10
	v_and_b32_e32 v22, 0xffff, v10
	v_mul_u32_u24_e32 v10, 6, v22
	v_lshl_add_u32 v22, v22, 3, 0
	v_lshlrev_b32_e32 v18, 3, v10
	v_add_nc_u32_e32 v23, 0x2000, v22
	v_add_nc_u32_e32 v24, 0x2800, v22
	s_clause 0x2
	global_load_dwordx4 v[10:13], v18, s[8:9] offset:312
	global_load_dwordx4 v[14:17], v18, s[8:9] offset:344
	;; [unrolled: 1-line block ×3, first 2 shown]
	s_waitcnt vmcnt(2)
	v_mul_f32_e32 v25, v43, v11
	s_waitcnt vmcnt(1)
	v_mul_f32_e32 v26, v3, v17
	v_mul_f32_e32 v29, v41, v13
	;; [unrolled: 1-line block ×7, first 2 shown]
	s_waitcnt vmcnt(0)
	v_mul_f32_e32 v27, v7, v21
	v_mul_f32_e32 v28, v5, v19
	;; [unrolled: 1-line block ×4, first 2 shown]
	v_fma_f32 v25, v42, v10, -v25
	v_fma_f32 v2, v2, v16, -v26
	;; [unrolled: 1-line block ×4, first 2 shown]
	v_fmac_f32_e32 v17, v3, v16
	v_fmac_f32_e32 v11, v43, v10
	;; [unrolled: 1-line block ×4, first 2 shown]
	v_fma_f32 v6, v6, v20, -v27
	v_fma_f32 v4, v4, v18, -v28
	v_fmac_f32_e32 v19, v5, v18
	v_fmac_f32_e32 v21, v7, v20
	v_sub_f32_e32 v1, v25, v2
	v_sub_f32_e32 v5, v26, v0
	v_add_f32_e32 v7, v11, v17
	v_add_f32_e32 v12, v13, v15
	;; [unrolled: 1-line block ×4, first 2 shown]
	v_sub_f32_e32 v3, v6, v4
	v_add_f32_e32 v10, v19, v21
	v_add_f32_e32 v4, v4, v6
	v_sub_f32_e32 v6, v11, v17
	v_sub_f32_e32 v11, v21, v19
	;; [unrolled: 1-line block ×3, first 2 shown]
	v_add_f32_e32 v18, v12, v7
	v_add_f32_e32 v21, v0, v2
	v_sub_f32_e32 v14, v1, v3
	v_sub_f32_e32 v15, v3, v5
	v_add_f32_e32 v3, v3, v5
	v_sub_f32_e32 v16, v7, v10
	v_sub_f32_e32 v17, v10, v12
	v_sub_f32_e32 v19, v2, v4
	v_sub_f32_e32 v20, v4, v0
	v_sub_f32_e32 v26, v11, v13
	v_sub_f32_e32 v7, v12, v7
	v_sub_f32_e32 v12, v13, v6
	v_add_f32_e32 v10, v10, v18
	v_add_f32_e32 v4, v4, v21
	v_sub_f32_e32 v25, v6, v11
	v_add_f32_e32 v11, v11, v13
	v_sub_f32_e32 v5, v5, v1
	v_sub_f32_e32 v2, v0, v2
	v_mul_f32_e32 v13, 0xbf08b237, v15
	v_add_f32_e32 v3, v3, v1
	v_mul_f32_e32 v15, 0x3f4a47b2, v16
	v_mul_f32_e32 v16, 0x3d64c772, v17
	;; [unrolled: 1-line block ×5, first 2 shown]
	v_add_f32_e32 v1, v9, v10
	v_add_f32_e32 v0, v8, v4
	v_mul_f32_e32 v19, 0x3d64c772, v20
	v_add_f32_e32 v6, v11, v6
	v_mul_f32_e32 v11, 0x3f5ff5aa, v5
	v_fmamk_f32 v27, v14, 0x3eae86e6, v13
	v_fmamk_f32 v17, v17, 0x3d64c772, v15
	;; [unrolled: 1-line block ×4, first 2 shown]
	v_fma_f32 v8, 0xbf3bfb3b, v7, -v15
	v_fma_f32 v15, 0xbeae86e6, v25, -v26
	v_fma_f32 v7, 0x3f3bfb3b, v7, -v16
	v_fma_f32 v13, 0x3f5ff5aa, v5, -v13
	v_fma_f32 v16, 0x3f5ff5aa, v12, -v21
	v_fmamk_f32 v5, v10, 0xbf955555, v1
	v_fmamk_f32 v4, v4, 0xbf955555, v0
	v_fma_f32 v11, 0xbeae86e6, v14, -v11
	v_fma_f32 v14, 0xbf3bfb3b, v2, -v18
	;; [unrolled: 1-line block ×3, first 2 shown]
	v_fmac_f32_e32 v27, 0x3ee1c552, v3
	v_fmac_f32_e32 v20, 0x3ee1c552, v6
	;; [unrolled: 1-line block ×5, first 2 shown]
	v_add_f32_e32 v6, v17, v5
	v_add_f32_e32 v17, v9, v4
	;; [unrolled: 1-line block ×4, first 2 shown]
	v_fmac_f32_e32 v11, 0x3ee1c552, v3
	v_add_f32_e32 v14, v14, v4
	v_add_f32_e32 v2, v2, v4
	;; [unrolled: 1-line block ×3, first 2 shown]
	v_sub_f32_e32 v7, v8, v13
	v_add_f32_e32 v9, v13, v8
	v_sub_f32_e32 v13, v6, v27
	v_add_f32_e32 v5, v11, v10
	v_sub_f32_e32 v8, v2, v16
	v_sub_f32_e32 v11, v10, v11
	v_add_f32_e32 v10, v15, v14
	v_add_f32_e32 v3, v27, v6
	v_sub_f32_e32 v4, v14, v15
	v_add_f32_e32 v6, v16, v2
	v_sub_f32_e32 v2, v17, v20
	ds_write2_b64 v23, v[0:1], v[12:13] offset0:68 offset1:120
	ds_write2_b64 v23, v[10:11], v[8:9] offset0:172 offset1:224
	;; [unrolled: 1-line block ×3, first 2 shown]
	ds_write_b64 v22, v[2:3] offset:11232
.LBB0_23:
	s_or_b32 exec_lo, exec_lo, s1
	v_add_co_u32 v20, s0, s8, v36
	v_add_co_ci_u32_e64 v21, s0, s9, v37, s0
	v_add_co_u32 v24, s0, s8, v38
	v_add_co_ci_u32_e64 v25, s0, s9, v39, s0
	;; [unrolled: 2-line block ×4, first 2 shown]
	s_waitcnt lgkmcnt(0)
	s_barrier
	buffer_gl0_inv
	s_clause 0x1
	global_load_dwordx2 v[16:17], v[0:1], off offset:760
	global_load_dwordx2 v[18:19], v[2:3], off offset:168
	v_add_nc_u32_e32 v26, 0x1600, v44
	v_add_nc_u32_e32 v28, 0x2000, v44
	v_add_nc_u32_e32 v27, 0xa00, v44
	ds_read2_b64 v[0:3], v26 offset0:24 offset1:206
	ds_read2_b64 v[4:7], v44 offset1:182
	ds_read2_b64 v[8:11], v28 offset0:68 offset1:250
	ds_read2_b64 v[12:15], v27 offset0:44 offset1:226
	v_add_co_u32 v20, s0, 0x1000, v20
	v_add_co_ci_u32_e64 v21, s0, 0, v21, s0
	v_add_co_u32 v22, s0, 0x1800, v24
	v_add_co_ci_u32_e64 v23, s0, 0, v25, s0
	;; [unrolled: 2-line block ×3, first 2 shown]
	s_waitcnt vmcnt(0) lgkmcnt(0)
	s_barrier
	buffer_gl0_inv
	v_mul_f32_e32 v29, v17, v1
	v_mul_f32_e32 v30, v17, v0
	;; [unrolled: 1-line block ×8, first 2 shown]
	v_fma_f32 v0, v16, v0, -v29
	v_fmac_f32_e32 v30, v16, v1
	v_fma_f32 v2, v18, v2, -v31
	v_fmac_f32_e32 v35, v18, v3
	;; [unrolled: 2-line block ×4, first 2 shown]
	v_sub_f32_e32 v0, v4, v0
	v_sub_f32_e32 v1, v5, v30
	;; [unrolled: 1-line block ×8, first 2 shown]
	v_fma_f32 v4, v4, 2.0, -v0
	v_fma_f32 v5, v5, 2.0, -v1
	;; [unrolled: 1-line block ×8, first 2 shown]
	ds_write2_b64 v27, v[0:1], v[2:3] offset0:44 offset1:226
	ds_write2_b64 v28, v[8:9], v[10:11] offset0:68 offset1:250
	ds_write2_b64 v44, v[4:5], v[6:7] offset1:182
	ds_write2_b64 v26, v[12:13], v[14:15] offset0:24 offset1:206
	s_waitcnt lgkmcnt(0)
	s_barrier
	buffer_gl0_inv
	s_clause 0x3
	global_load_dwordx2 v[16:17], v[20:21], off offset:1624
	global_load_dwordx2 v[18:19], v[22:23], off offset:1032
	;; [unrolled: 1-line block ×4, first 2 shown]
	ds_read2_b64 v[0:3], v26 offset0:24 offset1:206
	ds_read2_b64 v[4:7], v28 offset0:68 offset1:250
	ds_read2_b64 v[8:11], v44 offset1:182
	ds_read2_b64 v[12:15], v27 offset0:44 offset1:226
	s_waitcnt vmcnt(0) lgkmcnt(0)
	s_barrier
	buffer_gl0_inv
	v_mul_f32_e32 v24, v17, v1
	v_mul_f32_e32 v17, v17, v0
	v_mul_f32_e32 v25, v19, v3
	v_mul_f32_e32 v19, v19, v2
	v_mul_f32_e32 v29, v21, v5
	v_mul_f32_e32 v21, v21, v4
	v_mul_f32_e32 v30, v23, v7
	v_mul_f32_e32 v23, v23, v6
	v_fma_f32 v0, v16, v0, -v24
	v_fmac_f32_e32 v17, v16, v1
	v_fma_f32 v2, v18, v2, -v25
	v_fmac_f32_e32 v19, v18, v3
	v_fma_f32 v4, v20, v4, -v29
	v_fmac_f32_e32 v21, v20, v5
	v_fma_f32 v6, v22, v6, -v30
	v_fmac_f32_e32 v23, v22, v7
	v_sub_f32_e32 v0, v8, v0
	v_sub_f32_e32 v1, v9, v17
	v_sub_f32_e32 v2, v10, v2
	v_sub_f32_e32 v3, v11, v19
	v_sub_f32_e32 v4, v12, v4
	v_sub_f32_e32 v5, v13, v21
	v_sub_f32_e32 v6, v14, v6
	v_sub_f32_e32 v7, v15, v23
	v_fma_f32 v8, v8, 2.0, -v0
	v_fma_f32 v9, v9, 2.0, -v1
	;; [unrolled: 1-line block ×8, first 2 shown]
	ds_write2_b64 v26, v[0:1], v[2:3] offset0:24 offset1:206
	ds_write2_b64 v28, v[4:5], v[6:7] offset0:68 offset1:250
	ds_write2_b64 v44, v[8:9], v[10:11] offset1:182
	ds_write2_b64 v27, v[12:13], v[14:15] offset0:44 offset1:226
	s_waitcnt lgkmcnt(0)
	s_barrier
	buffer_gl0_inv
	s_and_saveexec_b32 s0, vcc_lo
	s_cbranch_execz .LBB0_25
; %bb.24:
	v_lshl_add_u32 v16, v34, 3, 0
	v_mov_b32_e32 v35, 0
	v_add_nc_u32_e32 v4, 0xb6, v34
	v_add_co_u32 v20, vcc_lo, s2, v32
	v_add_nc_u32_e32 v6, 0xa00, v16
	v_mov_b32_e32 v5, v35
	ds_read2_b64 v[0:3], v16 offset1:182
	v_lshlrev_b64 v[8:9], 3, v[34:35]
	v_add_nc_u32_e32 v12, 0x16c, v34
	v_mov_b32_e32 v13, v35
	v_lshlrev_b64 v[10:11], 3, v[4:5]
	ds_read2_b64 v[4:7], v6 offset0:44 offset1:226
	v_add_co_ci_u32_e32 v21, vcc_lo, s3, v33, vcc_lo
	v_add_co_u32 v8, vcc_lo, v20, v8
	v_lshlrev_b64 v[12:13], 3, v[12:13]
	v_add_co_ci_u32_e32 v9, vcc_lo, v21, v9, vcc_lo
	v_add_co_u32 v10, vcc_lo, v20, v10
	v_add_co_ci_u32_e32 v11, vcc_lo, v21, v11, vcc_lo
	v_add_co_u32 v12, vcc_lo, v20, v12
	v_add_nc_u32_e32 v14, 0x222, v34
	v_mov_b32_e32 v15, v35
	v_add_co_ci_u32_e32 v13, vcc_lo, v21, v13, vcc_lo
	s_waitcnt lgkmcnt(1)
	global_store_dwordx2 v[8:9], v[0:1], off
	global_store_dwordx2 v[10:11], v[2:3], off
	s_waitcnt lgkmcnt(0)
	global_store_dwordx2 v[12:13], v[4:5], off
	v_lshlrev_b64 v[0:1], 3, v[14:15]
	v_add_nc_u32_e32 v2, 0x1600, v16
	v_add_nc_u32_e32 v4, 0x2d8, v34
	v_mov_b32_e32 v5, v35
	v_add_nc_u32_e32 v8, 0x38e, v34
	v_mov_b32_e32 v9, v35
	v_add_nc_u32_e32 v10, 0x2000, v16
	v_add_co_u32 v12, vcc_lo, v20, v0
	v_add_co_ci_u32_e32 v13, vcc_lo, v21, v1, vcc_lo
	ds_read2_b64 v[0:3], v2 offset0:24 offset1:206
	v_lshlrev_b64 v[4:5], 3, v[4:5]
	v_lshlrev_b64 v[14:15], 3, v[8:9]
	v_add_nc_u32_e32 v16, 0x444, v34
	v_mov_b32_e32 v17, v35
	ds_read2_b64 v[8:11], v10 offset0:68 offset1:250
	v_add_nc_u32_e32 v34, 0x4fa, v34
	v_add_co_u32 v4, vcc_lo, v20, v4
	v_lshlrev_b64 v[16:17], 3, v[16:17]
	v_add_co_ci_u32_e32 v5, vcc_lo, v21, v5, vcc_lo
	v_add_co_u32 v14, vcc_lo, v20, v14
	v_lshlrev_b64 v[18:19], 3, v[34:35]
	v_add_co_ci_u32_e32 v15, vcc_lo, v21, v15, vcc_lo
	v_add_co_u32 v16, vcc_lo, v20, v16
	v_add_co_ci_u32_e32 v17, vcc_lo, v21, v17, vcc_lo
	v_add_co_u32 v18, vcc_lo, v20, v18
	v_add_co_ci_u32_e32 v19, vcc_lo, v21, v19, vcc_lo
	global_store_dwordx2 v[12:13], v[6:7], off
	s_waitcnt lgkmcnt(1)
	global_store_dwordx2 v[4:5], v[0:1], off
	global_store_dwordx2 v[14:15], v[2:3], off
	s_waitcnt lgkmcnt(0)
	global_store_dwordx2 v[16:17], v[8:9], off
	global_store_dwordx2 v[18:19], v[10:11], off
.LBB0_25:
	s_endpgm
	.section	.rodata,"a",@progbits
	.p2align	6, 0x0
	.amdhsa_kernel fft_rtc_fwd_len1456_factors_13_4_7_2_2_wgs_182_tpt_182_halfLds_sp_ip_CI_unitstride_sbrr_C2R_dirReg
		.amdhsa_group_segment_fixed_size 0
		.amdhsa_private_segment_fixed_size 0
		.amdhsa_kernarg_size 88
		.amdhsa_user_sgpr_count 6
		.amdhsa_user_sgpr_private_segment_buffer 1
		.amdhsa_user_sgpr_dispatch_ptr 0
		.amdhsa_user_sgpr_queue_ptr 0
		.amdhsa_user_sgpr_kernarg_segment_ptr 1
		.amdhsa_user_sgpr_dispatch_id 0
		.amdhsa_user_sgpr_flat_scratch_init 0
		.amdhsa_user_sgpr_private_segment_size 0
		.amdhsa_wavefront_size32 1
		.amdhsa_uses_dynamic_stack 0
		.amdhsa_system_sgpr_private_segment_wavefront_offset 0
		.amdhsa_system_sgpr_workgroup_id_x 1
		.amdhsa_system_sgpr_workgroup_id_y 0
		.amdhsa_system_sgpr_workgroup_id_z 0
		.amdhsa_system_sgpr_workgroup_info 0
		.amdhsa_system_vgpr_workitem_id 0
		.amdhsa_next_free_vgpr 144
		.amdhsa_next_free_sgpr 21
		.amdhsa_reserve_vcc 1
		.amdhsa_reserve_flat_scratch 0
		.amdhsa_float_round_mode_32 0
		.amdhsa_float_round_mode_16_64 0
		.amdhsa_float_denorm_mode_32 3
		.amdhsa_float_denorm_mode_16_64 3
		.amdhsa_dx10_clamp 1
		.amdhsa_ieee_mode 1
		.amdhsa_fp16_overflow 0
		.amdhsa_workgroup_processor_mode 1
		.amdhsa_memory_ordered 1
		.amdhsa_forward_progress 0
		.amdhsa_shared_vgpr_count 0
		.amdhsa_exception_fp_ieee_invalid_op 0
		.amdhsa_exception_fp_denorm_src 0
		.amdhsa_exception_fp_ieee_div_zero 0
		.amdhsa_exception_fp_ieee_overflow 0
		.amdhsa_exception_fp_ieee_underflow 0
		.amdhsa_exception_fp_ieee_inexact 0
		.amdhsa_exception_int_div_zero 0
	.end_amdhsa_kernel
	.text
.Lfunc_end0:
	.size	fft_rtc_fwd_len1456_factors_13_4_7_2_2_wgs_182_tpt_182_halfLds_sp_ip_CI_unitstride_sbrr_C2R_dirReg, .Lfunc_end0-fft_rtc_fwd_len1456_factors_13_4_7_2_2_wgs_182_tpt_182_halfLds_sp_ip_CI_unitstride_sbrr_C2R_dirReg
                                        ; -- End function
	.section	.AMDGPU.csdata,"",@progbits
; Kernel info:
; codeLenInByte = 8764
; NumSgprs: 23
; NumVgprs: 144
; ScratchSize: 0
; MemoryBound: 0
; FloatMode: 240
; IeeeMode: 1
; LDSByteSize: 0 bytes/workgroup (compile time only)
; SGPRBlocks: 2
; VGPRBlocks: 17
; NumSGPRsForWavesPerEU: 23
; NumVGPRsForWavesPerEU: 144
; Occupancy: 7
; WaveLimiterHint : 1
; COMPUTE_PGM_RSRC2:SCRATCH_EN: 0
; COMPUTE_PGM_RSRC2:USER_SGPR: 6
; COMPUTE_PGM_RSRC2:TRAP_HANDLER: 0
; COMPUTE_PGM_RSRC2:TGID_X_EN: 1
; COMPUTE_PGM_RSRC2:TGID_Y_EN: 0
; COMPUTE_PGM_RSRC2:TGID_Z_EN: 0
; COMPUTE_PGM_RSRC2:TIDIG_COMP_CNT: 0
	.text
	.p2alignl 6, 3214868480
	.fill 48, 4, 3214868480
	.type	__hip_cuid_ceda825198ab4c1e,@object ; @__hip_cuid_ceda825198ab4c1e
	.section	.bss,"aw",@nobits
	.globl	__hip_cuid_ceda825198ab4c1e
__hip_cuid_ceda825198ab4c1e:
	.byte	0                               ; 0x0
	.size	__hip_cuid_ceda825198ab4c1e, 1

	.ident	"AMD clang version 19.0.0git (https://github.com/RadeonOpenCompute/llvm-project roc-6.4.0 25133 c7fe45cf4b819c5991fe208aaa96edf142730f1d)"
	.section	".note.GNU-stack","",@progbits
	.addrsig
	.addrsig_sym __hip_cuid_ceda825198ab4c1e
	.amdgpu_metadata
---
amdhsa.kernels:
  - .args:
      - .actual_access:  read_only
        .address_space:  global
        .offset:         0
        .size:           8
        .value_kind:     global_buffer
      - .offset:         8
        .size:           8
        .value_kind:     by_value
      - .actual_access:  read_only
        .address_space:  global
        .offset:         16
        .size:           8
        .value_kind:     global_buffer
      - .actual_access:  read_only
        .address_space:  global
        .offset:         24
        .size:           8
        .value_kind:     global_buffer
      - .offset:         32
        .size:           8
        .value_kind:     by_value
      - .actual_access:  read_only
        .address_space:  global
        .offset:         40
        .size:           8
        .value_kind:     global_buffer
      - .actual_access:  read_only
        .address_space:  global
        .offset:         48
        .size:           8
        .value_kind:     global_buffer
      - .offset:         56
        .size:           4
        .value_kind:     by_value
      - .actual_access:  read_only
        .address_space:  global
        .offset:         64
        .size:           8
        .value_kind:     global_buffer
      - .actual_access:  read_only
        .address_space:  global
        .offset:         72
        .size:           8
        .value_kind:     global_buffer
      - .address_space:  global
        .offset:         80
        .size:           8
        .value_kind:     global_buffer
    .group_segment_fixed_size: 0
    .kernarg_segment_align: 8
    .kernarg_segment_size: 88
    .language:       OpenCL C
    .language_version:
      - 2
      - 0
    .max_flat_workgroup_size: 182
    .name:           fft_rtc_fwd_len1456_factors_13_4_7_2_2_wgs_182_tpt_182_halfLds_sp_ip_CI_unitstride_sbrr_C2R_dirReg
    .private_segment_fixed_size: 0
    .sgpr_count:     23
    .sgpr_spill_count: 0
    .symbol:         fft_rtc_fwd_len1456_factors_13_4_7_2_2_wgs_182_tpt_182_halfLds_sp_ip_CI_unitstride_sbrr_C2R_dirReg.kd
    .uniform_work_group_size: 1
    .uses_dynamic_stack: false
    .vgpr_count:     144
    .vgpr_spill_count: 0
    .wavefront_size: 32
    .workgroup_processor_mode: 1
amdhsa.target:   amdgcn-amd-amdhsa--gfx1030
amdhsa.version:
  - 1
  - 2
...

	.end_amdgpu_metadata
